;; amdgpu-corpus repo=ROCm/rocFFT kind=compiled arch=gfx906 opt=O3
	.text
	.amdgcn_target "amdgcn-amd-amdhsa--gfx906"
	.amdhsa_code_object_version 6
	.protected	fft_rtc_fwd_len336_factors_7_8_2_3_wgs_252_tpt_42_dim3_dp_op_CI_CI_sbcr_dirReg_intrinsicReadWrite ; -- Begin function fft_rtc_fwd_len336_factors_7_8_2_3_wgs_252_tpt_42_dim3_dp_op_CI_CI_sbcr_dirReg_intrinsicReadWrite
	.globl	fft_rtc_fwd_len336_factors_7_8_2_3_wgs_252_tpt_42_dim3_dp_op_CI_CI_sbcr_dirReg_intrinsicReadWrite
	.p2align	8
	.type	fft_rtc_fwd_len336_factors_7_8_2_3_wgs_252_tpt_42_dim3_dp_op_CI_CI_sbcr_dirReg_intrinsicReadWrite,@function
fft_rtc_fwd_len336_factors_7_8_2_3_wgs_252_tpt_42_dim3_dp_op_CI_CI_sbcr_dirReg_intrinsicReadWrite: ; @fft_rtc_fwd_len336_factors_7_8_2_3_wgs_252_tpt_42_dim3_dp_op_CI_CI_sbcr_dirReg_intrinsicReadWrite
; %bb.0:
	s_load_dwordx4 s[0:3], s[4:5], 0x8
	s_mov_b32 s7, 0
	s_mov_b64 s[26:27], 0
	s_waitcnt lgkmcnt(0)
	s_load_dwordx2 s[10:11], s[0:1], 0x8
	s_waitcnt lgkmcnt(0)
	s_add_u32 s8, s10, -1
	s_addc_u32 s9, s11, -1
	s_add_u32 s12, 0, 0xaaa80000
	s_addc_u32 s13, 0, 0xaa
	s_mul_hi_u32 s15, s12, -6
	s_add_i32 s13, s13, 0x2aaaaa00
	s_sub_i32 s15, s15, s12
	s_mul_i32 s18, s13, -6
	s_mul_i32 s14, s12, -6
	s_add_i32 s15, s15, s18
	s_mul_hi_u32 s16, s13, s14
	s_mul_i32 s17, s13, s14
	s_mul_i32 s19, s12, s15
	s_mul_hi_u32 s14, s12, s14
	s_mul_hi_u32 s18, s12, s15
	s_add_u32 s14, s14, s19
	s_addc_u32 s18, 0, s18
	s_add_u32 s14, s14, s17
	s_mul_hi_u32 s19, s13, s15
	s_addc_u32 s14, s18, s16
	s_addc_u32 s16, s19, 0
	s_mul_i32 s15, s13, s15
	s_add_u32 s14, s14, s15
	v_mov_b32_e32 v1, s14
	s_addc_u32 s15, 0, s16
	v_add_co_u32_e32 v1, vcc, s12, v1
	s_cmp_lg_u64 vcc, 0
	s_addc_u32 s12, s13, s15
	v_readfirstlane_b32 s15, v1
	s_mul_i32 s14, s8, s12
	s_mul_hi_u32 s16, s8, s15
	s_mul_hi_u32 s13, s8, s12
	s_add_u32 s14, s16, s14
	s_addc_u32 s13, 0, s13
	s_mul_hi_u32 s17, s9, s15
	s_mul_i32 s15, s9, s15
	s_add_u32 s14, s14, s15
	s_mul_hi_u32 s16, s9, s12
	s_addc_u32 s13, s13, s17
	s_addc_u32 s14, s16, 0
	s_mul_i32 s12, s9, s12
	s_add_u32 s12, s13, s12
	s_addc_u32 s13, 0, s14
	s_add_u32 s14, s12, 1
	s_addc_u32 s15, s13, 0
	s_add_u32 s16, s12, 2
	s_mul_i32 s18, s13, 6
	s_mul_hi_u32 s19, s12, 6
	s_addc_u32 s17, s13, 0
	s_add_i32 s19, s19, s18
	s_mul_i32 s18, s12, 6
	v_mov_b32_e32 v1, s18
	v_sub_co_u32_e32 v1, vcc, s8, v1
	s_cmp_lg_u64 vcc, 0
	s_subb_u32 s8, s9, s19
	v_subrev_co_u32_e32 v2, vcc, 6, v1
	s_cmp_lg_u64 vcc, 0
	s_subb_u32 s9, s8, 0
	v_readfirstlane_b32 s18, v2
	s_cmp_gt_u32 s18, 5
	s_cselect_b32 s18, -1, 0
	s_cmp_eq_u32 s9, 0
	s_cselect_b32 s9, s18, -1
	s_cmp_lg_u32 s9, 0
	s_cselect_b32 s9, s16, s14
	s_cselect_b32 s14, s17, s15
	v_readfirstlane_b32 s15, v1
	s_cmp_gt_u32 s15, 5
	s_cselect_b32 s15, -1, 0
	s_cmp_eq_u32 s8, 0
	s_cselect_b32 s8, s15, -1
	s_cmp_lg_u32 s8, 0
	s_cselect_b32 s9, s9, s12
	s_cselect_b32 s8, s14, s13
	s_add_u32 s24, s9, 1
	s_addc_u32 s25, s8, 0
	v_mov_b32_e32 v1, s24
	v_mov_b32_e32 v2, s25
	v_cmp_lt_u64_e32 vcc, s[6:7], v[1:2]
	s_cbranch_vccnz .LBB0_2
; %bb.1:
	v_cvt_f32_u32_e32 v1, s24
	s_sub_i32 s8, 0, s24
	s_mov_b32 s27, s7
	v_rcp_iflag_f32_e32 v1, v1
	v_mul_f32_e32 v1, 0x4f7ffffe, v1
	v_cvt_u32_f32_e32 v1, v1
	v_readfirstlane_b32 s9, v1
	s_mul_i32 s8, s8, s9
	s_mul_hi_u32 s8, s9, s8
	s_add_i32 s9, s9, s8
	s_mul_hi_u32 s8, s6, s9
	s_mul_i32 s12, s8, s24
	s_sub_i32 s12, s6, s12
	s_add_i32 s9, s8, 1
	s_sub_i32 s13, s12, s24
	s_cmp_ge_u32 s12, s24
	s_cselect_b32 s8, s9, s8
	s_cselect_b32 s12, s13, s12
	s_add_i32 s9, s8, 1
	s_cmp_ge_u32 s12, s24
	s_cselect_b32 s26, s9, s8
.LBB0_2:
	s_load_dwordx2 s[18:19], s[0:1], 0x10
	s_load_dwordx2 s[22:23], s[4:5], 0x18
	;; [unrolled: 1-line block ×3, first 2 shown]
	s_load_dwordx4 s[12:15], s[2:3], 0x0
	s_mov_b64 s[16:17], s[26:27]
	s_waitcnt lgkmcnt(0)
	v_mov_b32_e32 v1, s18
	v_mov_b32_e32 v2, s19
	v_cmp_lt_u64_e32 vcc, s[26:27], v[1:2]
	s_cbranch_vccnz .LBB0_4
; %bb.3:
	v_cvt_f32_u32_e32 v1, s18
	s_sub_i32 s0, 0, s18
	v_rcp_iflag_f32_e32 v1, v1
	v_mul_f32_e32 v1, 0x4f7ffffe, v1
	v_cvt_u32_f32_e32 v1, v1
	v_readfirstlane_b32 s1, v1
	s_mul_i32 s0, s0, s1
	s_mul_hi_u32 s0, s1, s0
	s_add_i32 s1, s1, s0
	s_mul_hi_u32 s0, s26, s1
	s_mul_i32 s0, s0, s18
	s_sub_i32 s0, s26, s0
	s_sub_i32 s1, s0, s18
	s_cmp_ge_u32 s0, s18
	s_cselect_b32 s0, s1, s0
	s_sub_i32 s1, s0, s18
	s_cmp_ge_u32 s0, s18
	s_cselect_b32 s16, s1, s0
.LBB0_4:
	s_mul_i32 s0, s18, s25
	s_mul_hi_u32 s1, s18, s24
	s_add_i32 s0, s1, s0
	s_mul_i32 s1, s19, s24
	s_mul_i32 s28, s18, s24
	s_load_dwordx2 s[20:21], s[4:5], 0x0
	s_add_i32 s29, s0, s1
	s_load_dwordx2 s[0:1], s[2:3], 0x10
	v_mov_b32_e32 v1, s28
	v_mov_b32_e32 v2, s29
	v_cmp_lt_u64_e32 vcc, s[6:7], v[1:2]
	s_mov_b64 s[18:19], 0
	s_cbranch_vccnz .LBB0_6
; %bb.5:
	v_cvt_f32_u32_e32 v1, s28
	s_waitcnt lgkmcnt(0)
	s_sub_i32 s1, 0, s28
	v_rcp_iflag_f32_e32 v1, v1
	v_mul_f32_e32 v1, 0x4f7ffffe, v1
	v_cvt_u32_f32_e32 v1, v1
	v_readfirstlane_b32 s7, v1
	s_mul_i32 s1, s1, s7
	s_mul_hi_u32 s1, s7, s1
	s_add_i32 s7, s7, s1
	s_mul_hi_u32 s1, s6, s7
	s_mul_i32 s13, s1, s28
	s_sub_i32 s13, s6, s13
	s_add_i32 s7, s1, 1
	s_sub_i32 s15, s13, s28
	s_cmp_ge_u32 s13, s28
	s_cselect_b32 s1, s7, s1
	s_cselect_b32 s13, s15, s13
	s_add_i32 s7, s1, 1
	s_cmp_ge_u32 s13, s28
	s_cselect_b32 s18, s7, s1
.LBB0_6:
	s_waitcnt lgkmcnt(0)
	s_mul_i32 s1, s26, s25
	s_mul_hi_u32 s7, s26, s24
	s_add_i32 s7, s7, s1
	s_mul_i32 s1, s26, s24
	s_sub_u32 s1, s6, s1
	s_load_dword s2, s[2:3], 0x18
	v_mul_u32_u24_e32 v1, 0x2aab, v0
	s_subb_u32 s6, 0, s7
	v_lshrrev_b32_e32 v59, 16, v1
	s_mul_i32 s6, s6, 6
	s_mul_hi_u32 s7, s1, 6
	v_mul_lo_u16_e32 v1, 6, v59
	s_add_i32 s17, s7, s6
	s_mul_i32 s19, s1, 6
	v_sub_u16_e32 v61, v0, v1
	s_mul_i32 s1, s14, s19
	s_mul_i32 s0, s0, s16
	v_mov_b32_e32 v3, s17
	v_add_co_u32_e32 v2, vcc, s19, v61
	s_add_i32 s0, s0, s1
	s_waitcnt lgkmcnt(0)
	s_mul_i32 s1, s2, s18
	v_addc_co_u32_e32 v3, vcc, 0, v3, vcc
	s_add_i32 s1, s1, s0
	v_cmp_gt_u64_e32 vcc, s[10:11], v[2:3]
	v_add_u32_e32 v2, 48, v59
	v_add_u32_e32 v3, 0x120, v59
	s_add_u32 s24, s19, 6
	v_mov_b32_e32 v9, s10
	v_mul_lo_u32 v1, s14, v61
	v_mul_lo_u32 v2, s12, v2
	;; [unrolled: 1-line block ×3, first 2 shown]
	s_addc_u32 s25, s17, 0
	v_mov_b32_e32 v10, s11
	v_cmp_le_u64_e64 s[2:3], s[24:25], v[9:10]
	v_add_u32_e32 v15, 0x90, v59
	v_cndmask_b32_e64 v7, 0, 1, vcc
	v_add_lshl_u32 v2, v1, v2, 4
	s_or_b64 vcc, s[2:3], vcc
	v_add_lshl_u32 v8, v1, v8, 4
	v_mul_lo_u32 v15, s12, v15
	s_lshl_b32 s13, s1, 4
	s_mov_b32 s11, 0x20000
	s_mov_b32 s10, -2
	v_cndmask_b32_e32 v2, -1, v2, vcc
	v_cndmask_b32_e32 v8, -1, v8, vcc
	v_cmp_lt_u32_e64 s[6:7], 35, v0
	v_cmp_gt_u32_e64 s[0:1], 36, v0
	buffer_load_dwordx4 v[2:5], v2, s[8:11], s13 offen
	s_or_b64 s[2:3], s[6:7], s[2:3]
	buffer_load_dwordx4 v[11:14], v8, s[8:11], s13 offen
	v_cndmask_b32_e64 v8, 0, 1, s[0:1]
	v_cndmask_b32_e64 v7, v7, v8, s[2:3]
	v_add_u32_e32 v8, 0x60, v59
	v_add_u32_e32 v16, 0xf0, v59
	v_mul_lo_u32 v8, s12, v8
	v_mul_lo_u32 v16, s12, v16
	v_add_lshl_u32 v15, v1, v15, 4
	v_cndmask_b32_e32 v23, -1, v15, vcc
	v_or_b32_e32 v15, 0xc0, v59
	v_mul_lo_u32 v25, s12, v15
	v_add_lshl_u32 v8, v1, v8, 4
	v_add_lshl_u32 v16, v1, v16, 4
	v_cndmask_b32_e32 v8, -1, v8, vcc
	v_cndmask_b32_e32 v24, -1, v16, vcc
	buffer_load_dwordx4 v[15:18], v8, s[8:11], s13 offen
	buffer_load_dwordx4 v[19:22], v23, s[8:11], s13 offen
	v_add_lshl_u32 v27, v1, v25, 4
	buffer_load_dwordx4 v[23:26], v24, s[8:11], s13 offen
	v_cndmask_b32_e32 v27, -1, v27, vcc
	buffer_load_dwordx4 v[27:30], v27, s[8:11], s13 offen
	v_add_u32_e32 v8, 0x5a, v59
	v_mul_lo_u32 v8, s12, v8
	v_add_u32_e32 v31, 0x8a, v59
	v_add_u32_e32 v32, 0x14a, v59
	v_mul_lo_u32 v31, s12, v31
	v_mul_lo_u32 v32, s12, v32
	v_and_b32_e32 v7, 1, v7
	v_add_lshl_u32 v8, v1, v8, 4
	v_cmp_eq_u32_e64 s[2:3], 1, v7
	v_cndmask_b32_e64 v7, -1, v8, s[2:3]
	v_add_lshl_u32 v8, v1, v31, 4
	v_add_lshl_u32 v31, v1, v32, 4
	v_cndmask_b32_e64 v43, -1, v31, s[2:3]
	v_add_u32_e32 v31, 0x11a, v59
	v_cndmask_b32_e64 v8, -1, v8, s[2:3]
	v_mul_lo_u32 v44, s12, v31
	buffer_load_dwordx4 v[31:34], v7, s[8:11], s13 offen
	buffer_load_dwordx4 v[35:38], v8, s[8:11], s13 offen
	;; [unrolled: 1-line block ×3, first 2 shown]
	v_mul_lo_u32 v6, s12, v59
	v_add_u32_e32 v60, 42, v59
	v_add_lshl_u32 v7, v1, v44, 4
	v_cndmask_b32_e64 v7, -1, v7, s[2:3]
	v_add_lshl_u32 v6, v1, v6, 4
	v_cndmask_b32_e32 v6, -1, v6, vcc
	buffer_load_dwordx4 v[43:46], v7, s[8:11], s13 offen
	buffer_load_dwordx4 v[47:50], v6, s[8:11], s13 offen
	v_add_u32_e32 v6, 0xba, v59
	v_mul_lo_u32 v6, s12, v6
	v_add_u32_e32 v7, 0xea, v59
	v_mul_lo_u32 v7, s12, v7
	s_mov_b32 s30, 0x36b3c0b5
	v_add_lshl_u32 v6, v1, v6, 4
	v_cndmask_b32_e64 v6, -1, v6, s[2:3]
	v_add_lshl_u32 v7, v1, v7, 4
	v_cndmask_b32_e64 v7, -1, v7, s[2:3]
	buffer_load_dwordx4 v[51:54], v6, s[8:11], s13 offen
	buffer_load_dwordx4 v[55:58], v7, s[8:11], s13 offen
	v_mul_lo_u32 v6, s12, v60
	s_mov_b32 s26, 0xe976ee23
	s_mov_b32 s31, 0x3fac98ee
	;; [unrolled: 1-line block ×3, first 2 shown]
	v_add_lshl_u32 v1, v1, v6, 4
	v_cndmask_b32_e64 v1, -1, v1, s[2:3]
	buffer_load_dwordx4 v[62:65], v1, s[8:11], s13 offen
	s_mov_b32 s8, 0xaaaaaaaa
	s_mov_b32 s6, 0x5476071b
	s_mov_b32 s2, 0x429ad128
	s_mov_b32 s9, 0xbff2aaaa
	s_mov_b32 s7, 0x3fe77f67
	s_mov_b32 s3, 0x3febfeb5
	s_mov_b32 s34, 0x37c3f68c
	s_mov_b32 s35, 0x3fdc38aa
	s_mov_b32 s10, 0x37e14327
	s_mov_b32 s11, 0x3fe948f6
	s_mov_b32 s12, 0xb247c609
	s_mov_b32 s29, 0xbfe77f67
	s_mov_b32 s28, s6
	s_mov_b32 s13, 0x3fd5d0dc
	s_mov_b32 s15, 0xbfd5d0dc
	s_mov_b32 s14, s12
	v_cmp_gt_u64_e32 vcc, s[24:25], v[9:10]
	s_waitcnt vmcnt(12)
	v_add_f64 v[6:7], v[2:3], v[11:12]
	v_add_f64 v[68:69], v[4:5], v[13:14]
	v_add_f64 v[80:81], v[2:3], -v[11:12]
	v_add_f64 v[82:83], v[4:5], -v[13:14]
	s_waitcnt vmcnt(9)
	v_add_f64 v[66:67], v[15:16], v[23:24]
	v_add_f64 v[70:71], v[17:18], v[25:26]
	s_waitcnt vmcnt(8)
	v_add_f64 v[72:73], v[19:20], v[27:28]
	v_add_f64 v[74:75], v[21:22], v[29:30]
	v_add_f64 v[23:24], v[15:16], -v[23:24]
	v_add_f64 v[25:26], v[17:18], -v[25:26]
	;; [unrolled: 1-line block ×4, first 2 shown]
	v_add_f64 v[76:77], v[66:67], v[6:7]
	v_add_f64 v[78:79], v[70:71], v[68:69]
	v_add_f64 v[84:85], v[23:24], -v[80:81]
	v_add_f64 v[86:87], v[25:26], -v[82:83]
	v_add_f64 v[76:77], v[72:73], v[76:77]
	v_add_f64 v[78:79], v[74:75], v[78:79]
	s_waitcnt vmcnt(5)
	v_add_f64 v[11:12], v[31:32], v[39:40]
	v_add_f64 v[17:18], v[33:34], v[41:42]
	v_add_f64 v[21:22], v[31:32], -v[39:40]
	v_add_f64 v[13:14], v[33:34], -v[41:42]
	;; [unrolled: 1-line block ×4, first 2 shown]
	v_add_f64 v[39:40], v[27:28], v[23:24]
	v_add_f64 v[66:67], v[27:28], -v[23:24]
	v_add_f64 v[23:24], v[29:30], -v[25:26]
	s_waitcnt vmcnt(3)
	v_add_f64 v[1:2], v[47:48], v[76:77]
	v_add_f64 v[3:4], v[49:50], v[78:79]
	v_add_f64 v[41:42], v[29:30], v[25:26]
	v_add_f64 v[49:50], v[74:75], -v[70:71]
	v_mul_f64 v[25:26], v[33:34], s[30:31]
	v_add_f64 v[47:48], v[70:71], -v[68:69]
	v_mul_f64 v[90:91], v[66:67], s[26:27]
	v_mul_f64 v[88:89], v[23:24], s[26:27]
	v_fma_f64 v[76:77], v[76:77], s[8:9], v[1:2]
	v_add_f64 v[15:16], v[35:36], v[43:44]
	v_add_f64 v[41:42], v[41:42], v[82:83]
	v_mul_f64 v[23:24], v[49:50], s[30:31]
	v_fma_f64 v[66:67], v[31:32], s[6:7], -v[25:26]
	v_add_f64 v[19:20], v[37:38], v[45:46]
	v_add_f64 v[25:26], v[35:36], -v[43:44]
	v_fma_f64 v[70:71], v[86:87], s[2:3], -v[88:89]
	v_add_f64 v[5:6], v[6:7], -v[72:73]
	v_add_f64 v[39:40], v[39:40], v[80:81]
	v_fma_f64 v[78:79], v[78:79], s[8:9], v[3:4]
	v_fma_f64 v[92:93], v[47:48], s[6:7], -v[23:24]
	v_add_f64 v[23:24], v[37:38], -v[45:46]
	v_add_f64 v[35:36], v[66:67], v[76:77]
	v_fma_f64 v[94:95], v[84:85], s[2:3], -v[90:91]
	v_fma_f64 v[37:38], v[41:42], s[34:35], v[70:71]
	v_add_f64 v[7:8], v[68:69], -v[74:75]
	v_mul_f64 v[5:6], v[5:6], s[10:11]
	v_add_f64 v[29:30], v[82:83], -v[29:30]
	v_add_f64 v[43:44], v[92:93], v[78:79]
	v_add_f64 v[27:28], v[80:81], -v[27:28]
	s_waitcnt vmcnt(1)
	v_add_f64 v[92:93], v[51:52], v[55:56]
	v_fma_f64 v[45:46], v[39:40], s[34:35], v[94:95]
	v_add_f64 v[66:67], v[35:36], -v[37:38]
	v_add_f64 v[70:71], v[37:38], v[35:36]
	v_mul_f64 v[35:36], v[86:87], s[2:3]
	v_mul_f64 v[7:8], v[7:8], s[10:11]
	v_fma_f64 v[31:32], v[31:32], s[28:29], -v[5:6]
	v_fma_f64 v[5:6], v[33:34], s[30:31], v[5:6]
	v_mul_f64 v[33:34], v[84:85], s[2:3]
	v_add_f64 v[94:95], v[53:54], v[57:58]
	v_add_f64 v[55:56], v[55:56], -v[51:52]
	v_add_f64 v[57:58], v[57:58], -v[53:54]
	v_fma_f64 v[35:36], v[29:30], s[14:15], -v[35:36]
	v_add_f64 v[68:69], v[45:46], v[43:44]
	v_add_f64 v[72:73], v[43:44], -v[45:46]
	v_fma_f64 v[37:38], v[47:48], s[28:29], -v[7:8]
	v_fma_f64 v[7:8], v[49:50], s[30:31], v[7:8]
	v_fma_f64 v[33:34], v[27:28], s[14:15], -v[33:34]
	v_add_f64 v[43:44], v[15:16], v[11:12]
	v_add_f64 v[45:46], v[19:20], v[17:18]
	v_add_f64 v[31:32], v[31:32], v[76:77]
	v_fma_f64 v[27:28], v[27:28], s[12:13], v[90:91]
	v_fma_f64 v[35:36], v[41:42], s[34:35], v[35:36]
	;; [unrolled: 1-line block ×3, first 2 shown]
	v_add_f64 v[80:81], v[37:38], v[78:79]
	v_fma_f64 v[82:83], v[39:40], s[34:35], v[33:34]
	v_add_f64 v[33:34], v[92:93], v[43:44]
	v_add_f64 v[84:85], v[94:95], v[45:46]
	;; [unrolled: 1-line block ×3, first 2 shown]
	v_fma_f64 v[90:91], v[39:40], s[34:35], v[27:28]
	v_add_f64 v[74:75], v[35:36], v[31:32]
	v_add_f64 v[78:79], v[31:32], -v[35:36]
	v_add_f64 v[27:28], v[11:12], -v[92:93]
	;; [unrolled: 1-line block ×5, first 2 shown]
	v_add_f64 v[86:87], v[5:6], v[76:77]
	v_fma_f64 v[29:30], v[41:42], s[34:35], v[29:30]
	s_waitcnt vmcnt(0)
	v_add_f64 v[5:6], v[62:63], v[33:34]
	v_add_f64 v[7:8], v[64:65], v[84:85]
	v_add_f64 v[51:52], v[92:93], -v[15:16]
	v_add_f64 v[53:54], v[94:95], -v[19:20]
	v_add_f64 v[41:42], v[55:56], v[25:26]
	v_add_f64 v[62:63], v[57:58], v[23:24]
	v_add_f64 v[47:48], v[55:56], -v[25:26]
	v_add_f64 v[49:50], v[57:58], -v[23:24]
	v_mul_f64 v[35:36], v[27:28], s[10:11]
	v_mul_f64 v[43:44], v[31:32], s[10:11]
	;; [unrolled: 1-line block ×4, first 2 shown]
	v_add_f64 v[55:56], v[41:42], v[21:22]
	v_add_f64 v[57:58], v[62:63], v[13:14]
	v_fma_f64 v[31:32], v[33:34], s[8:9], v[5:6]
	v_fma_f64 v[33:34], v[84:85], s[8:9], v[7:8]
	;; [unrolled: 1-line block ×6, first 2 shown]
	v_add_f64 v[76:77], v[80:81], -v[82:83]
	v_add_f64 v[80:81], v[82:83], v[80:81]
	v_add_f64 v[82:83], v[29:30], v[86:87]
	v_add_f64 v[86:87], v[86:87], -v[29:30]
	v_add_f64 v[27:28], v[27:28], v[31:32]
	v_add_f64 v[39:40], v[39:40], v[33:34]
	v_fma_f64 v[29:30], v[57:58], s[34:35], v[41:42]
	v_fma_f64 v[41:42], v[55:56], s[34:35], v[62:63]
	v_add_f64 v[84:85], v[88:89], -v[90:91]
	s_movk_i32 s8, 0x2a0
	v_mad_u32_u24 v62, v59, s8, 0
	v_lshl_add_u32 v63, v61, 4, v62
	v_add_f64 v[88:89], v[90:91], v[88:89]
	ds_write_b128 v63, v[1:4]
	ds_write_b128 v63, v[82:85] offset:96
	v_add_f64 v[1:2], v[29:30], v[27:28]
	v_add_f64 v[3:4], v[39:40], -v[41:42]
	ds_write_b128 v63, v[74:77] offset:192
	ds_write_b128 v63, v[66:69] offset:288
	s_load_dwordx8 s[8:15], s[22:23], 0x0
	ds_write_b128 v63, v[70:73] offset:384
	ds_write_b128 v63, v[78:81] offset:480
	;; [unrolled: 1-line block ×3, first 2 shown]
	s_and_saveexec_b64 s[22:23], s[0:1]
	s_cbranch_execz .LBB0_8
; %bb.7:
	v_add_f64 v[21:22], v[25:26], -v[21:22]
	v_add_f64 v[17:18], v[19:20], -v[17:18]
	v_mul_f64 v[19:20], v[47:48], s[26:27]
	v_add_f64 v[11:12], v[15:16], -v[11:12]
	v_add_f64 v[13:14], v[23:24], -v[13:14]
	v_mul_f64 v[9:10], v[51:52], s[30:31]
	v_mul_f64 v[51:52], v[53:54], s[30:31]
	;; [unrolled: 1-line block ×3, first 2 shown]
	s_mov_b32 s1, 0xbfebfeb5
	s_mov_b32 s0, s2
	v_mul_f64 v[53:54], v[55:56], s[34:35]
	v_mul_f64 v[55:56], v[57:58], s[34:35]
	v_fma_f64 v[15:16], v[21:22], s[0:1], -v[45:46]
	v_fma_f64 v[23:24], v[17:18], s[28:29], -v[43:44]
	;; [unrolled: 1-line block ×8, first 2 shown]
	v_add_f64 v[13:14], v[53:54], v[15:16]
	v_add_f64 v[25:26], v[23:24], v[33:34]
	;; [unrolled: 1-line block ×9, first 2 shown]
	v_add_f64 v[33:34], v[25:26], -v[13:14]
	v_add_f64 v[15:16], v[13:14], v[25:26]
	v_add_f64 v[31:32], v[35:36], v[37:38]
	v_add_f64 v[19:20], v[17:18], -v[23:24]
	v_add_f64 v[23:24], v[23:24], v[17:18]
	v_add_f64 v[21:22], v[9:10], -v[43:44]
	;; [unrolled: 2-line block ×3, first 2 shown]
	v_add_f64 v[9:10], v[27:28], -v[29:30]
	ds_write_b128 v63, v[5:8] offset:28224
	ds_write_b128 v63, v[1:4] offset:28320
	;; [unrolled: 1-line block ×7, first 2 shown]
.LBB0_8:
	s_or_b64 exec, exec, s[22:23]
	v_mul_lo_u16_e32 v33, 37, v59
	v_mov_b32_e32 v5, 7
	v_mul_lo_u16_sdwa v6, v33, v5 dst_sel:DWORD dst_unused:UNUSED_PAD src0_sel:BYTE_1 src1_sel:DWORD
	v_sub_u16_e32 v56, v59, v6
	v_mul_u32_u24_sdwa v5, v56, v5 dst_sel:DWORD dst_unused:UNUSED_PAD src0_sel:BYTE_0 src1_sel:DWORD
	v_lshlrev_b32_e32 v34, 4, v5
	s_waitcnt lgkmcnt(0)
	s_barrier
	global_load_dwordx4 v[5:8], v34, s[20:21]
	global_load_dwordx4 v[9:12], v34, s[20:21] offset:16
	global_load_dwordx4 v[13:16], v34, s[20:21] offset:32
	;; [unrolled: 1-line block ×6, first 2 shown]
	v_mul_i32_i24_e32 v34, 0xfffffdc0, v59
	v_lshlrev_b32_e32 v37, 4, v61
	v_add_u16_e32 v39, 0x54, v59
	v_add3_u32 v38, v62, v34, v37
	v_mov_b32_e32 v35, 56
	v_mul_lo_u16_e32 v36, 0x93, v60
	v_lshrrev_b16_e32 v69, 3, v39
	v_add_u32_e32 v87, 0x2800, v38
	v_mul_u32_u24_sdwa v57, v33, v35 dst_sel:DWORD dst_unused:UNUSED_PAD src0_sel:BYTE_1 src1_sel:DWORD
	v_lshrrev_b16_e32 v85, 11, v33
	v_lshrrev_b16_e32 v86, 13, v36
	ds_read_b128 v[33:36], v38
	ds_read_b128 v[40:43], v38 offset:4032
	ds_read_b128 v[44:47], v38 offset:8064
	;; [unrolled: 1-line block ×6, first 2 shown]
	v_mul_lo_u16_e32 v75, 37, v69
	ds_read2_b64 v[69:72], v87 offset0:232 offset1:233
	v_mul_lo_u16_e32 v73, 56, v85
	v_mul_lo_u16_e32 v74, 56, v86
	v_or_b32_sdwa v56, v57, v56 dst_sel:DWORD dst_unused:UNUSED_PAD src0_sel:DWORD src1_sel:BYTE_0
	v_sub_u16_e32 v57, v59, v73
	v_sub_u16_e32 v73, v60, v74
	v_mul_u32_u24_e32 v56, 0x60, v56
	v_lshrrev_b16_e32 v88, 8, v75
	v_and_b32_e32 v89, 0xff, v57
	v_and_b32_e32 v90, 0xff, v73
	v_add3_u32 v92, 0, v56, v37
	s_mov_b32 s0, 0x667f3bcd
	s_mov_b32 s1, 0xbfe6a09e
	s_mov_b32 s3, 0x3fe6a09e
	s_mov_b32 s2, s0
	v_add_u32_e32 v58, 0x7e, v59
	v_mul_lo_u16_e32 v91, 56, v88
	s_waitcnt vmcnt(0) lgkmcnt(0)
	s_barrier
	v_lshlrev_b32_e32 v93, 4, v89
	v_lshlrev_b32_e32 v94, 4, v90
	v_mul_f64 v[56:57], v[42:43], v[7:8]
	v_mul_f64 v[7:8], v[40:41], v[7:8]
	;; [unrolled: 1-line block ×14, first 2 shown]
	v_fma_f64 v[40:41], v[40:41], v[5:6], -v[56:57]
	v_fma_f64 v[5:6], v[42:43], v[5:6], v[7:8]
	v_fma_f64 v[7:8], v[44:45], v[9:10], -v[73:74]
	v_fma_f64 v[9:10], v[46:47], v[9:10], v[11:12]
	;; [unrolled: 2-line block ×7, first 2 shown]
	v_add_f64 v[15:16], v[33:34], -v[15:16]
	v_add_f64 v[17:18], v[35:36], -v[17:18]
	;; [unrolled: 1-line block ×8, first 2 shown]
	v_fma_f64 v[31:32], v[33:34], 2.0, -v[15:16]
	v_fma_f64 v[33:34], v[35:36], 2.0, -v[17:18]
	;; [unrolled: 1-line block ×8, first 2 shown]
	v_add_f64 v[25:26], v[15:16], -v[25:26]
	v_add_f64 v[40:41], v[17:18], v[19:20]
	v_add_f64 v[19:20], v[27:28], -v[29:30]
	v_add_f64 v[23:24], v[21:22], v[23:24]
	v_add_f64 v[29:30], v[31:32], -v[7:8]
	v_add_f64 v[42:43], v[33:34], -v[9:10]
	;; [unrolled: 1-line block ×4, first 2 shown]
	v_fma_f64 v[44:45], v[15:16], 2.0, -v[25:26]
	v_fma_f64 v[46:47], v[17:18], 2.0, -v[40:41]
	;; [unrolled: 1-line block ×4, first 2 shown]
	v_fma_f64 v[11:12], v[19:20], s[2:3], v[25:26]
	v_fma_f64 v[13:14], v[23:24], s[2:3], v[40:41]
	v_fma_f64 v[31:32], v[31:32], 2.0, -v[29:30]
	v_fma_f64 v[33:34], v[33:34], 2.0, -v[42:43]
	;; [unrolled: 1-line block ×4, first 2 shown]
	v_fma_f64 v[35:36], v[27:28], s[0:1], v[44:45]
	v_fma_f64 v[48:49], v[17:18], s[0:1], v[46:47]
	v_add_f64 v[5:6], v[29:30], -v[9:10]
	v_add_f64 v[7:8], v[42:43], v[7:8]
	v_fma_f64 v[9:10], v[23:24], s[0:1], v[11:12]
	v_fma_f64 v[11:12], v[19:20], s[2:3], v[13:14]
	v_add_f64 v[13:14], v[31:32], -v[15:16]
	v_add_f64 v[15:16], v[33:34], -v[21:22]
	v_fma_f64 v[17:18], v[17:18], s[0:1], v[35:36]
	v_fma_f64 v[19:20], v[27:28], s[2:3], v[48:49]
	v_fma_f64 v[21:22], v[29:30], 2.0, -v[5:6]
	v_fma_f64 v[23:24], v[42:43], 2.0, -v[7:8]
	;; [unrolled: 1-line block ×8, first 2 shown]
	ds_write_b128 v92, v[5:8] offset:4032
	ds_write_b128 v92, v[9:12] offset:4704
	;; [unrolled: 1-line block ×6, first 2 shown]
	ds_write_b128 v92, v[29:32]
	ds_write_b128 v92, v[33:36] offset:672
	v_sub_u16_e32 v13, v39, v91
	v_mul_u32_u24_e32 v14, 0x493, v58
	s_waitcnt lgkmcnt(0)
	s_barrier
	global_load_dwordx4 v[5:8], v93, s[20:21] offset:784
	global_load_dwordx4 v[9:12], v94, s[20:21] offset:784
	v_and_b32_e32 v21, 0xff, v13
	v_lshrrev_b32_e32 v22, 16, v14
	v_lshlrev_b32_e32 v13, 4, v21
	v_mul_lo_u16_e32 v14, 56, v22
	v_sub_u16_e32 v23, v58, v14
	global_load_dwordx4 v[13:16], v13, s[20:21] offset:784
	v_lshlrev_b32_e32 v17, 4, v23
	global_load_dwordx4 v[17:20], v17, s[20:21] offset:784
	s_movk_i32 s0, 0x70
	v_mad_u32_u24 v24, v85, s0, v89
	v_mad_u32_u24 v25, v86, s0, v90
	;; [unrolled: 1-line block ×4, first 2 shown]
	v_mul_u32_u24_e32 v23, 0x60, v24
	v_mul_u32_u24_e32 v24, 0x60, v25
	;; [unrolled: 1-line block ×4, first 2 shown]
	v_add3_u32 v58, 0, v23, v37
	v_add3_u32 v67, 0, v24, v37
	;; [unrolled: 1-line block ×4, first 2 shown]
	ds_read_b128 v[21:24], v38
	ds_read_b128 v[25:28], v38 offset:4032
	ds_read_b128 v[29:32], v38 offset:16128
	;; [unrolled: 1-line block ×5, first 2 shown]
	ds_read2_b64 v[48:51], v87 offset0:232 offset1:233
	ds_read_b128 v[52:55], v38 offset:28224
	s_waitcnt vmcnt(0) lgkmcnt(0)
	s_barrier
	s_movk_i32 s0, 0xa8
	v_cmp_gt_u32_e64 s[0:1], s0, v0
	v_mul_f64 v[56:57], v[31:32], v[7:8]
	v_mul_f64 v[7:8], v[29:30], v[7:8]
	;; [unrolled: 1-line block ×8, first 2 shown]
	v_fma_f64 v[29:30], v[29:30], v[5:6], -v[56:57]
	v_fma_f64 v[5:6], v[31:32], v[5:6], v[7:8]
	v_fma_f64 v[7:8], v[40:41], v[9:10], -v[61:62]
	v_fma_f64 v[9:10], v[42:43], v[9:10], v[11:12]
	;; [unrolled: 2-line block ×4, first 2 shown]
	v_add_f64 v[13:14], v[21:22], -v[29:30]
	v_add_f64 v[15:16], v[23:24], -v[5:6]
	;; [unrolled: 1-line block ×8, first 2 shown]
	v_fma_f64 v[21:22], v[21:22], 2.0, -v[13:14]
	v_fma_f64 v[23:24], v[23:24], 2.0, -v[15:16]
	;; [unrolled: 1-line block ×8, first 2 shown]
	ds_write_b128 v58, v[13:16] offset:5376
	ds_write_b128 v58, v[21:24]
	ds_write_b128 v67, v[25:28]
	ds_write_b128 v67, v[17:20] offset:5376
	ds_write_b128 v69, v[33:36]
	ds_write_b128 v69, v[29:32] offset:5376
	;; [unrolled: 2-line block ×3, first 2 shown]
	s_waitcnt lgkmcnt(0)
	s_barrier
	ds_read_b128 v[17:20], v38
	ds_read_b128 v[13:16], v38 offset:4032
	ds_read_b128 v[29:32], v38 offset:10752
	;; [unrolled: 1-line block ×5, first 2 shown]
	s_and_saveexec_b64 s[2:3], s[0:1]
	s_cbranch_execz .LBB0_10
; %bb.9:
	v_add_u32_e32 v1, 0x1f80, v38
	ds_read_b128 v[5:8], v1
	ds_read_b128 v[9:12], v38 offset:18816
	ds_read_b128 v[1:4], v38 offset:29568
.LBB0_10:
	s_or_b64 exec, exec, s[2:3]
	s_movk_i32 s2, 0x2a0
	v_lshlrev_b32_e32 v40, 1, v59
	v_add_u32_e32 v41, 0xffffff20, v40
	v_cmp_gt_u32_e64 s[2:3], s2, v0
	v_cndmask_b32_e64 v48, v41, v40, s[2:3]
	v_mov_b32_e32 v49, 0
	v_lshlrev_b64 v[40:41], 4, v[48:49]
	v_mov_b32_e32 v52, s21
	v_add_co_u32_e64 v50, s[2:3], s20, v40
	v_addc_co_u32_e64 v51, s[2:3], v52, v41, s[2:3]
	s_movk_i32 s2, 0x1a4
	v_add_u32_e32 v48, 0xffffffba, v59
	v_cmp_gt_u32_e64 s[2:3], s2, v0
	v_cndmask_b32_e64 v48, v48, v60, s[2:3]
	v_lshlrev_b32_e32 v48, 1, v48
	v_lshlrev_b64 v[48:49], 4, v[48:49]
	global_load_dwordx4 v[40:43], v[50:51], off offset:1696
	global_load_dwordx4 v[44:47], v[50:51], off offset:1680
	v_add_co_u32_e64 v56, s[2:3], s20, v48
	v_addc_co_u32_e64 v57, s[2:3], v52, v49, s[2:3]
	global_load_dwordx4 v[48:51], v[56:57], off offset:1680
	global_load_dwordx4 v[52:55], v[56:57], off offset:1696
	s_movk_i32 s2, 0x29f
	v_mov_b32_e32 v56, 0xe0
	s_movk_i32 s24, 0x1a3
	v_cmp_lt_u32_e64 s[2:3], s2, v0
	v_cndmask_b32_e64 v57, 0, v56, s[2:3]
	v_cmp_lt_u32_e64 s[2:3], s24, v0
	v_cndmask_b32_e64 v56, 0, v56, s[2:3]
	v_add_u32_e32 v57, v57, v59
	v_add_u32_e32 v56, v60, v56
	v_mul_u32_u24_e32 v57, 0x60, v57
	v_mul_u32_u24_e32 v56, 0x60, v56
	v_add3_u32 v64, 0, v57, v37
	v_add3_u32 v37, 0, v56, v37
	s_mov_b32 s6, 0xe8584caa
	s_mov_b32 s7, 0x3febb67a
	;; [unrolled: 1-line block ×4, first 2 shown]
	s_load_dwordx2 s[4:5], s[4:5], 0x58
	s_waitcnt vmcnt(0) lgkmcnt(0)
	s_barrier
	v_mul_f64 v[58:59], v[35:36], v[42:43]
	v_mul_f64 v[56:57], v[31:32], v[46:47]
	;; [unrolled: 1-line block ×8, first 2 shown]
	v_fma_f64 v[29:30], v[29:30], v[44:45], -v[56:57]
	v_fma_f64 v[31:32], v[31:32], v[44:45], v[46:47]
	v_fma_f64 v[33:34], v[33:34], v[40:41], -v[58:59]
	v_fma_f64 v[35:36], v[35:36], v[40:41], v[42:43]
	;; [unrolled: 2-line block ×4, first 2 shown]
	v_add_f64 v[40:41], v[17:18], v[29:30]
	v_add_f64 v[46:47], v[19:20], v[31:32]
	;; [unrolled: 1-line block ×3, first 2 shown]
	v_add_f64 v[44:45], v[31:32], -v[35:36]
	v_add_f64 v[31:32], v[31:32], v[35:36]
	v_add_f64 v[54:55], v[15:16], v[23:24]
	;; [unrolled: 1-line block ×3, first 2 shown]
	v_add_f64 v[52:53], v[23:24], -v[27:28]
	v_add_f64 v[23:24], v[23:24], v[27:28]
	v_add_f64 v[29:30], v[29:30], -v[33:34]
	v_fma_f64 v[42:43], v[42:43], -0.5, v[17:18]
	v_add_f64 v[48:49], v[13:14], v[21:22]
	v_fma_f64 v[31:32], v[31:32], -0.5, v[19:20]
	v_add_f64 v[56:57], v[21:22], -v[25:26]
	v_add_f64 v[17:18], v[40:41], v[33:34]
	v_add_f64 v[19:20], v[46:47], v[35:36]
	v_fma_f64 v[33:34], v[50:51], -0.5, v[13:14]
	v_fma_f64 v[35:36], v[23:24], -0.5, v[15:16]
	v_fma_f64 v[21:22], v[44:45], s[6:7], v[42:43]
	v_add_f64 v[13:14], v[48:49], v[25:26]
	v_fma_f64 v[23:24], v[29:30], s[22:23], v[31:32]
	v_add_f64 v[15:16], v[54:55], v[27:28]
	v_fma_f64 v[25:26], v[44:45], s[22:23], v[42:43]
	v_fma_f64 v[27:28], v[29:30], s[6:7], v[31:32]
	;; [unrolled: 1-line block ×6, first 2 shown]
	ds_write_b128 v64, v[17:20]
	ds_write_b128 v64, v[21:24] offset:10752
	ds_write_b128 v64, v[25:28] offset:21504
	ds_write_b128 v37, v[13:16]
	ds_write_b128 v37, v[29:32] offset:10752
	ds_write_b128 v37, v[33:36] offset:21504
	s_and_saveexec_b64 s[2:3], s[0:1]
	s_cbranch_execz .LBB0_12
; %bb.11:
	v_lshrrev_b16_e32 v13, 4, v39
	v_mul_lo_u16_e32 v13, 37, v13
	v_lshrrev_b16_e32 v13, 4, v13
	v_and_b32_e32 v13, 48, v13
	v_add_u16_e32 v13, v39, v13
	v_lshlrev_b16_e32 v13, 1, v13
	v_and_b32_e32 v13, 0xfe, v13
	v_lshlrev_b32_e32 v21, 4, v13
	global_load_dwordx4 v[13:16], v21, s[20:21] offset:1680
	global_load_dwordx4 v[17:20], v21, s[20:21] offset:1696
	s_waitcnt vmcnt(1)
	v_mul_f64 v[21:22], v[9:10], v[15:16]
	s_waitcnt vmcnt(0)
	v_mul_f64 v[23:24], v[1:2], v[19:20]
	v_mul_f64 v[15:16], v[11:12], v[15:16]
	;; [unrolled: 1-line block ×3, first 2 shown]
	v_fma_f64 v[11:12], v[11:12], v[13:14], v[21:22]
	v_fma_f64 v[3:4], v[3:4], v[17:18], v[23:24]
	v_fma_f64 v[9:10], v[9:10], v[13:14], -v[15:16]
	v_fma_f64 v[1:2], v[1:2], v[17:18], -v[19:20]
	v_add_f64 v[19:20], v[7:8], v[11:12]
	v_add_f64 v[13:14], v[11:12], v[3:4]
	v_add_f64 v[21:22], v[11:12], -v[3:4]
	v_add_f64 v[15:16], v[9:10], v[1:2]
	v_add_f64 v[17:18], v[9:10], -v[1:2]
	v_add_f64 v[9:10], v[5:6], v[9:10]
	v_add_f64 v[3:4], v[19:20], v[3:4]
	v_fma_f64 v[13:14], v[13:14], -0.5, v[7:8]
	v_fma_f64 v[5:6], v[15:16], -0.5, v[5:6]
	v_add_f64 v[1:2], v[9:10], v[1:2]
	v_fma_f64 v[11:12], v[17:18], s[22:23], v[13:14]
	v_fma_f64 v[7:8], v[17:18], s[6:7], v[13:14]
	;; [unrolled: 1-line block ×4, first 2 shown]
	ds_write_b128 v38, v[1:4] offset:8064
	ds_write_b128 v38, v[9:12] offset:18816
	;; [unrolled: 1-line block ×3, first 2 shown]
.LBB0_12:
	s_or_b64 exec, exec, s[2:3]
	s_mul_i32 s0, s10, s17
	s_mul_hi_u32 s1, s10, s19
	s_add_i32 s0, s1, s0
	s_mul_i32 s1, s11, s19
	s_mul_i32 s2, s13, s16
	s_mul_hi_u32 s3, s12, s16
	s_add_i32 s0, s0, s1
	s_mul_i32 s1, s10, s19
	s_add_i32 s3, s3, s2
	s_mul_i32 s2, s12, s16
	s_add_u32 s1, s2, s1
	s_addc_u32 s2, s3, s0
	s_mul_i32 s0, s15, s18
	s_mul_hi_u32 s3, s14, s18
	s_add_i32 s3, s3, s0
	s_mul_i32 s0, s14, s18
	s_add_u32 s0, s0, s1
	s_addc_u32 s1, s3, s2
	s_andn2_b64 vcc, exec, vcc
	s_mov_b64 s[2:3], -1
	s_waitcnt lgkmcnt(0)
	s_barrier
	s_cbranch_vccz .LBB0_15
; %bb.13:
	s_and_b64 vcc, exec, s[2:3]
	s_cbranch_vccnz .LBB0_18
.LBB0_14:
	s_endpgm
.LBB0_15:
	s_lshl_b64 s[2:3], s[0:1], 4
	s_add_u32 s6, s4, s2
	s_addc_u32 s7, s5, s3
	s_mov_b64 s[2:3], 0
	v_mov_b32_e32 v1, s7
	s_movk_i32 s7, 0x7df
	v_mov_b32_e32 v2, v0
.LBB0_16:                               ; =>This Inner Loop Header: Depth=1
	v_lshrrev_b16_e32 v3, 4, v2
	v_mul_u32_u24_e32 v3, 0xc31, v3
	v_lshrrev_b32_e32 v11, 16, v3
	v_mul_lo_u16_e32 v3, 0x150, v11
	v_sub_u16_e32 v13, v2, v3
	v_mad_u64_u32 v[7:8], s[12:13], s10, v11, 0
	v_mad_u64_u32 v[9:10], s[12:13], s8, v13, 0
	v_mad_legacy_u16 v3, v13, 6, v11
	v_add_u32_e32 v2, 0xfc, v2
	v_mad_u64_u32 v[11:12], s[12:13], s11, v11, v[8:9]
	v_mov_b32_e32 v8, v10
	v_mad_u64_u32 v[12:13], s[12:13], s9, v13, v[8:9]
	v_lshl_add_u32 v3, v3, 4, 0
	v_cmp_lt_u32_e32 vcc, s7, v2
	v_mov_b32_e32 v10, v12
	v_lshlrev_b64 v[9:10], 4, v[9:10]
	ds_read_b128 v[3:6], v3
	v_mov_b32_e32 v8, v11
	s_or_b64 s[2:3], vcc, s[2:3]
	v_lshlrev_b64 v[7:8], 4, v[7:8]
	v_add_co_u32_e32 v9, vcc, s6, v9
	v_addc_co_u32_e32 v10, vcc, v1, v10, vcc
	v_add_co_u32_e32 v7, vcc, v9, v7
	v_addc_co_u32_e32 v8, vcc, v10, v8, vcc
	s_waitcnt lgkmcnt(0)
	global_store_dwordx4 v[7:8], v[3:6], off
	s_andn2_b64 exec, exec, s[2:3]
	s_cbranch_execnz .LBB0_16
; %bb.17:
	s_or_b64 exec, exec, s[2:3]
	s_branch .LBB0_14
.LBB0_18:
	v_and_b32_e32 v3, 0xffff, v0
	v_mad_u64_u32 v[1:2], s[2:3], s8, v3, 0
	v_add_u16_e32 v5, 0xfc, v0
	v_mul_u32_u24_e32 v6, 0x187, v5
	v_lshrrev_b32_e32 v6, 17, v6
	v_mad_u64_u32 v[2:3], s[2:3], s9, v3, v[2:3]
	v_mul_lo_u16_e32 v7, 0x150, v6
	v_sub_u16_e32 v5, v5, v7
	v_mad_u64_u32 v[9:10], s[2:3], s8, v5, 0
	s_lshl_b64 s[0:1], s[0:1], 4
	s_add_u32 s0, s4, s0
	v_lshlrev_b64 v[1:2], 4, v[1:2]
	v_mul_lo_u16_e32 v4, 6, v0
	s_addc_u32 s1, s5, s1
	v_lshl_add_u32 v3, v4, 4, 0
	v_mov_b32_e32 v4, s1
	v_add_co_u32_e32 v11, vcc, s0, v1
	v_mov_b32_e32 v1, v10
	v_addc_co_u32_e32 v12, vcc, v4, v2, vcc
	v_mad_u64_u32 v[13:14], s[2:3], s9, v5, v[1:2]
	ds_read_b128 v[1:4], v3
	v_mul_lo_u16_e32 v5, 6, v5
	v_or_b32_e32 v5, v5, v6
	v_mul_lo_u32 v16, s11, v6
	v_mad_u64_u32 v[14:15], s[2:3], s10, v6, 0
	v_and_b32_e32 v5, 0xffff, v5
	v_lshl_add_u32 v5, v5, 4, 0
	ds_read_b128 v[5:8], v5
	v_mov_b32_e32 v10, v13
	s_waitcnt lgkmcnt(1)
	global_store_dwordx4 v[11:12], v[1:4], off
	v_or_b32_e32 v15, v15, v16
	v_lshlrev_b64 v[1:2], 4, v[9:10]
	v_mov_b32_e32 v3, s1
	v_add_co_u32_e32 v16, vcc, s0, v1
	v_add_u16_e32 v1, 0x1f8, v0
	v_addc_co_u32_e32 v17, vcc, v3, v2, vcc
	v_mul_u32_u24_e32 v2, 0x619, v1
	v_lshrrev_b32_e32 v18, 19, v2
	v_mul_lo_u16_e32 v2, 0x150, v18
	v_sub_u16_e32 v19, v1, v2
	v_mad_u64_u32 v[1:2], s[2:3], s8, v19, 0
	v_mad_u64_u32 v[9:10], s[2:3], s10, v18, 0
	v_lshlrev_b64 v[3:4], 4, v[14:15]
	v_mad_u64_u32 v[11:12], s[2:3], s9, v19, v[2:3]
	v_mov_b32_e32 v2, v10
	v_mad_u64_u32 v[12:13], s[2:3], s11, v18, v[2:3]
	v_add_co_u32_e32 v2, vcc, v16, v3
	v_addc_co_u32_e32 v3, vcc, v17, v4, vcc
	s_waitcnt lgkmcnt(0)
	global_store_dwordx4 v[2:3], v[5:8], off
	v_mov_b32_e32 v2, v11
	v_add_u16_e32 v6, 0x2f4, v0
	v_mul_u32_u24_e32 v7, 0x619, v6
	v_lshlrev_b64 v[1:2], 4, v[1:2]
	v_lshrrev_b32_e32 v7, 19, v7
	v_mul_lo_u16_e32 v8, 0x150, v7
	v_mov_b32_e32 v10, v12
	v_mov_b32_e32 v4, s1
	v_add_co_u32_e32 v5, vcc, s0, v1
	v_sub_u16_e32 v6, v6, v8
	v_addc_co_u32_e32 v4, vcc, v4, v2, vcc
	v_lshlrev_b64 v[1:2], 4, v[9:10]
	v_mad_u64_u32 v[9:10], s[2:3], s8, v6, 0
	v_mad_legacy_u16 v3, v19, 6, v18
	v_mad_u64_u32 v[13:14], s[2:3], s10, v7, 0
	v_lshl_add_u32 v3, v3, 4, 0
	v_add_co_u32_e32 v11, vcc, v5, v1
	v_mov_b32_e32 v1, v10
	v_addc_co_u32_e32 v12, vcc, v4, v2, vcc
	v_mad_u64_u32 v[15:16], s[2:3], s9, v6, v[1:2]
	ds_read_b128 v[1:4], v3
	v_mov_b32_e32 v5, v14
	v_mad_u64_u32 v[16:17], s[2:3], s11, v7, v[5:6]
	v_mad_legacy_u16 v5, v6, 6, v7
	v_lshl_add_u32 v5, v5, 4, 0
	ds_read_b128 v[5:8], v5
	v_mov_b32_e32 v10, v15
	s_waitcnt lgkmcnt(1)
	global_store_dwordx4 v[11:12], v[1:4], off
	v_mov_b32_e32 v14, v16
	v_lshlrev_b64 v[1:2], 4, v[9:10]
	v_mov_b32_e32 v3, s1
	v_add_co_u32_e32 v15, vcc, s0, v1
	v_add_u16_e32 v1, 0x3f0, v0
	v_addc_co_u32_e32 v16, vcc, v3, v2, vcc
	v_mul_u32_u24_e32 v2, 0x619, v1
	v_lshrrev_b32_e32 v17, 19, v2
	v_mul_lo_u16_e32 v2, 0x150, v17
	v_sub_u16_e32 v18, v1, v2
	v_mad_u64_u32 v[1:2], s[2:3], s8, v18, 0
	v_mad_u64_u32 v[9:10], s[2:3], s10, v17, 0
	v_lshlrev_b64 v[3:4], 4, v[13:14]
	v_mad_u64_u32 v[11:12], s[2:3], s9, v18, v[2:3]
	v_mov_b32_e32 v2, v10
	v_mad_u64_u32 v[12:13], s[2:3], s11, v17, v[2:3]
	v_add_co_u32_e32 v2, vcc, v15, v3
	v_addc_co_u32_e32 v3, vcc, v16, v4, vcc
	s_waitcnt lgkmcnt(0)
	global_store_dwordx4 v[2:3], v[5:8], off
	v_mov_b32_e32 v2, v11
	v_add_u16_e32 v6, 0x4ec, v0
	v_mul_u32_u24_e32 v7, 0x619, v6
	v_lshlrev_b64 v[1:2], 4, v[1:2]
	v_lshrrev_b32_e32 v7, 19, v7
	v_mul_lo_u16_e32 v8, 0x150, v7
	v_mov_b32_e32 v10, v12
	v_mov_b32_e32 v4, s1
	v_add_co_u32_e32 v5, vcc, s0, v1
	v_sub_u16_e32 v6, v6, v8
	v_addc_co_u32_e32 v4, vcc, v4, v2, vcc
	v_lshlrev_b64 v[1:2], 4, v[9:10]
	v_mad_u64_u32 v[9:10], s[2:3], s8, v6, 0
	v_mad_legacy_u16 v3, v18, 6, v17
	v_mad_u64_u32 v[13:14], s[2:3], s10, v7, 0
	v_lshl_add_u32 v3, v3, 4, 0
	v_add_co_u32_e32 v11, vcc, v5, v1
	v_mov_b32_e32 v1, v10
	v_addc_co_u32_e32 v12, vcc, v4, v2, vcc
	v_mad_u64_u32 v[15:16], s[2:3], s9, v6, v[1:2]
	ds_read_b128 v[1:4], v3
	v_mov_b32_e32 v5, v14
	v_mad_u64_u32 v[16:17], s[2:3], s11, v7, v[5:6]
	v_mad_legacy_u16 v5, v6, 6, v7
	v_lshl_add_u32 v5, v5, 4, 0
	ds_read_b128 v[5:8], v5
	v_mov_b32_e32 v10, v15
	s_waitcnt lgkmcnt(1)
	global_store_dwordx4 v[11:12], v[1:4], off
	v_mov_b32_e32 v14, v16
	v_lshlrev_b64 v[1:2], 4, v[9:10]
	v_mov_b32_e32 v3, s1
	v_add_co_u32_e32 v15, vcc, s0, v1
	v_add_u16_e32 v1, 0x5e8, v0
	v_addc_co_u32_e32 v16, vcc, v3, v2, vcc
	v_mul_u32_u24_e32 v2, 0x619, v1
	v_lshrrev_b32_e32 v17, 19, v2
	v_mul_lo_u16_e32 v2, 0x150, v17
	v_sub_u16_e32 v18, v1, v2
	v_mad_u64_u32 v[1:2], s[2:3], s8, v18, 0
	v_mad_u64_u32 v[9:10], s[2:3], s10, v17, 0
	v_lshlrev_b64 v[3:4], 4, v[13:14]
	v_add_u16_e32 v0, 0x6e4, v0
	v_mad_u64_u32 v[11:12], s[2:3], s9, v18, v[2:3]
	v_mov_b32_e32 v2, v10
	v_mad_u64_u32 v[12:13], s[2:3], s11, v17, v[2:3]
	v_add_co_u32_e32 v2, vcc, v15, v3
	v_addc_co_u32_e32 v3, vcc, v16, v4, vcc
	s_waitcnt lgkmcnt(0)
	global_store_dwordx4 v[2:3], v[5:8], off
	v_mov_b32_e32 v2, v11
	v_mul_u32_u24_e32 v6, 0x619, v0
	v_lshlrev_b64 v[1:2], 4, v[1:2]
	v_lshrrev_b32_e32 v6, 19, v6
	v_mul_lo_u16_e32 v7, 0x150, v6
	v_mov_b32_e32 v10, v12
	v_mov_b32_e32 v4, s1
	v_add_co_u32_e32 v5, vcc, s0, v1
	v_sub_u16_e32 v7, v0, v7
	v_addc_co_u32_e32 v4, vcc, v4, v2, vcc
	v_lshlrev_b64 v[1:2], 4, v[9:10]
	v_mad_u64_u32 v[8:9], s[2:3], s8, v7, 0
	v_mad_legacy_u16 v3, v18, 6, v17
	v_mad_u64_u32 v[12:13], s[2:3], s10, v6, 0
	v_lshl_add_u32 v3, v3, 4, 0
	v_add_co_u32_e32 v10, vcc, v5, v1
	v_mov_b32_e32 v0, v9
	v_addc_co_u32_e32 v11, vcc, v4, v2, vcc
	v_mad_u64_u32 v[14:15], s[2:3], s9, v7, v[0:1]
	ds_read_b128 v[0:3], v3
	v_mov_b32_e32 v4, v13
	v_mad_u64_u32 v[15:16], s[2:3], s11, v6, v[4:5]
	v_mad_legacy_u16 v4, v7, 6, v6
	v_lshl_add_u32 v4, v4, 4, 0
	ds_read_b128 v[4:7], v4
	v_mov_b32_e32 v9, v14
	s_waitcnt lgkmcnt(1)
	global_store_dwordx4 v[10:11], v[0:3], off
	v_mov_b32_e32 v13, v15
	v_lshlrev_b64 v[0:1], 4, v[8:9]
	v_mov_b32_e32 v2, s1
	v_add_co_u32_e32 v3, vcc, s0, v0
	v_addc_co_u32_e32 v2, vcc, v2, v1, vcc
	v_lshlrev_b64 v[0:1], 4, v[12:13]
	v_add_co_u32_e32 v0, vcc, v3, v0
	v_addc_co_u32_e32 v1, vcc, v2, v1, vcc
	s_waitcnt lgkmcnt(0)
	global_store_dwordx4 v[0:1], v[4:7], off
	s_endpgm
	.section	.rodata,"a",@progbits
	.p2align	6, 0x0
	.amdhsa_kernel fft_rtc_fwd_len336_factors_7_8_2_3_wgs_252_tpt_42_dim3_dp_op_CI_CI_sbcr_dirReg_intrinsicReadWrite
		.amdhsa_group_segment_fixed_size 0
		.amdhsa_private_segment_fixed_size 0
		.amdhsa_kernarg_size 96
		.amdhsa_user_sgpr_count 6
		.amdhsa_user_sgpr_private_segment_buffer 1
		.amdhsa_user_sgpr_dispatch_ptr 0
		.amdhsa_user_sgpr_queue_ptr 0
		.amdhsa_user_sgpr_kernarg_segment_ptr 1
		.amdhsa_user_sgpr_dispatch_id 0
		.amdhsa_user_sgpr_flat_scratch_init 0
		.amdhsa_user_sgpr_private_segment_size 0
		.amdhsa_uses_dynamic_stack 0
		.amdhsa_system_sgpr_private_segment_wavefront_offset 0
		.amdhsa_system_sgpr_workgroup_id_x 1
		.amdhsa_system_sgpr_workgroup_id_y 0
		.amdhsa_system_sgpr_workgroup_id_z 0
		.amdhsa_system_sgpr_workgroup_info 0
		.amdhsa_system_vgpr_workitem_id 0
		.amdhsa_next_free_vgpr 96
		.amdhsa_next_free_sgpr 36
		.amdhsa_reserve_vcc 1
		.amdhsa_reserve_flat_scratch 0
		.amdhsa_float_round_mode_32 0
		.amdhsa_float_round_mode_16_64 0
		.amdhsa_float_denorm_mode_32 3
		.amdhsa_float_denorm_mode_16_64 3
		.amdhsa_dx10_clamp 1
		.amdhsa_ieee_mode 1
		.amdhsa_fp16_overflow 0
		.amdhsa_exception_fp_ieee_invalid_op 0
		.amdhsa_exception_fp_denorm_src 0
		.amdhsa_exception_fp_ieee_div_zero 0
		.amdhsa_exception_fp_ieee_overflow 0
		.amdhsa_exception_fp_ieee_underflow 0
		.amdhsa_exception_fp_ieee_inexact 0
		.amdhsa_exception_int_div_zero 0
	.end_amdhsa_kernel
	.text
.Lfunc_end0:
	.size	fft_rtc_fwd_len336_factors_7_8_2_3_wgs_252_tpt_42_dim3_dp_op_CI_CI_sbcr_dirReg_intrinsicReadWrite, .Lfunc_end0-fft_rtc_fwd_len336_factors_7_8_2_3_wgs_252_tpt_42_dim3_dp_op_CI_CI_sbcr_dirReg_intrinsicReadWrite
                                        ; -- End function
	.section	.AMDGPU.csdata,"",@progbits
; Kernel info:
; codeLenInByte = 7256
; NumSgprs: 40
; NumVgprs: 96
; ScratchSize: 0
; MemoryBound: 0
; FloatMode: 240
; IeeeMode: 1
; LDSByteSize: 0 bytes/workgroup (compile time only)
; SGPRBlocks: 4
; VGPRBlocks: 23
; NumSGPRsForWavesPerEU: 40
; NumVGPRsForWavesPerEU: 96
; Occupancy: 2
; WaveLimiterHint : 1
; COMPUTE_PGM_RSRC2:SCRATCH_EN: 0
; COMPUTE_PGM_RSRC2:USER_SGPR: 6
; COMPUTE_PGM_RSRC2:TRAP_HANDLER: 0
; COMPUTE_PGM_RSRC2:TGID_X_EN: 1
; COMPUTE_PGM_RSRC2:TGID_Y_EN: 0
; COMPUTE_PGM_RSRC2:TGID_Z_EN: 0
; COMPUTE_PGM_RSRC2:TIDIG_COMP_CNT: 0
	.type	__hip_cuid_6f79174abb12e729,@object ; @__hip_cuid_6f79174abb12e729
	.section	.bss,"aw",@nobits
	.globl	__hip_cuid_6f79174abb12e729
__hip_cuid_6f79174abb12e729:
	.byte	0                               ; 0x0
	.size	__hip_cuid_6f79174abb12e729, 1

	.ident	"AMD clang version 19.0.0git (https://github.com/RadeonOpenCompute/llvm-project roc-6.4.0 25133 c7fe45cf4b819c5991fe208aaa96edf142730f1d)"
	.section	".note.GNU-stack","",@progbits
	.addrsig
	.addrsig_sym __hip_cuid_6f79174abb12e729
	.amdgpu_metadata
---
amdhsa.kernels:
  - .args:
      - .actual_access:  read_only
        .address_space:  global
        .offset:         0
        .size:           8
        .value_kind:     global_buffer
      - .actual_access:  read_only
        .address_space:  global
        .offset:         8
        .size:           8
        .value_kind:     global_buffer
      - .actual_access:  read_only
        .address_space:  global
        .offset:         16
        .size:           8
        .value_kind:     global_buffer
      - .actual_access:  read_only
        .address_space:  global
        .offset:         24
        .size:           8
        .value_kind:     global_buffer
      - .offset:         32
        .size:           8
        .value_kind:     by_value
      - .actual_access:  read_only
        .address_space:  global
        .offset:         40
        .size:           8
        .value_kind:     global_buffer
      - .actual_access:  read_only
        .address_space:  global
        .offset:         48
        .size:           8
        .value_kind:     global_buffer
      - .offset:         56
        .size:           4
        .value_kind:     by_value
      - .actual_access:  read_only
        .address_space:  global
        .offset:         64
        .size:           8
        .value_kind:     global_buffer
      - .actual_access:  read_only
        .address_space:  global
        .offset:         72
        .size:           8
        .value_kind:     global_buffer
      - .address_space:  global
        .offset:         80
        .size:           8
        .value_kind:     global_buffer
      - .actual_access:  write_only
        .address_space:  global
        .offset:         88
        .size:           8
        .value_kind:     global_buffer
    .group_segment_fixed_size: 0
    .kernarg_segment_align: 8
    .kernarg_segment_size: 96
    .language:       OpenCL C
    .language_version:
      - 2
      - 0
    .max_flat_workgroup_size: 252
    .name:           fft_rtc_fwd_len336_factors_7_8_2_3_wgs_252_tpt_42_dim3_dp_op_CI_CI_sbcr_dirReg_intrinsicReadWrite
    .private_segment_fixed_size: 0
    .sgpr_count:     40
    .sgpr_spill_count: 0
    .symbol:         fft_rtc_fwd_len336_factors_7_8_2_3_wgs_252_tpt_42_dim3_dp_op_CI_CI_sbcr_dirReg_intrinsicReadWrite.kd
    .uniform_work_group_size: 1
    .uses_dynamic_stack: false
    .vgpr_count:     96
    .vgpr_spill_count: 0
    .wavefront_size: 64
amdhsa.target:   amdgcn-amd-amdhsa--gfx906
amdhsa.version:
  - 1
  - 2
...

	.end_amdgpu_metadata
